;; amdgpu-corpus repo=ROCm/rocFFT kind=compiled arch=gfx950 opt=O3
	.text
	.amdgcn_target "amdgcn-amd-amdhsa--gfx950"
	.amdhsa_code_object_version 6
	.protected	fft_rtc_back_len160_factors_4_10_4_wgs_192_tpt_16_half_op_CI_CI_sbcc_twdbase8_2step_dirReg ; -- Begin function fft_rtc_back_len160_factors_4_10_4_wgs_192_tpt_16_half_op_CI_CI_sbcc_twdbase8_2step_dirReg
	.globl	fft_rtc_back_len160_factors_4_10_4_wgs_192_tpt_16_half_op_CI_CI_sbcc_twdbase8_2step_dirReg
	.p2align	8
	.type	fft_rtc_back_len160_factors_4_10_4_wgs_192_tpt_16_half_op_CI_CI_sbcc_twdbase8_2step_dirReg,@function
fft_rtc_back_len160_factors_4_10_4_wgs_192_tpt_16_half_op_CI_CI_sbcc_twdbase8_2step_dirReg: ; @fft_rtc_back_len160_factors_4_10_4_wgs_192_tpt_16_half_op_CI_CI_sbcc_twdbase8_2step_dirReg
; %bb.0:
	s_load_dwordx4 s[20:23], s[0:1], 0x18
	s_load_dwordx2 s[34:35], s[0:1], 0x28
	s_mov_b32 s3, 0
	s_mov_b64 s[28:29], 0
	s_waitcnt lgkmcnt(0)
	s_load_dwordx2 s[24:25], s[20:21], 0x8
	s_waitcnt lgkmcnt(0)
	s_add_u32 s4, s24, -1
	s_addc_u32 s5, s25, -1
	s_add_u32 s6, 0, 0x55540000
	s_addc_u32 s7, 0, 0x55
	s_mul_hi_u32 s9, s6, -12
	s_add_i32 s7, s7, 0x15555500
	s_sub_i32 s9, s9, s6
	s_mul_i32 s12, s7, -12
	s_mul_i32 s8, s6, -12
	s_add_i32 s9, s9, s12
	s_mul_hi_u32 s10, s7, s8
	s_mul_i32 s11, s7, s8
	s_mul_i32 s13, s6, s9
	s_mul_hi_u32 s8, s6, s8
	s_mul_hi_u32 s12, s6, s9
	s_add_u32 s8, s8, s13
	s_addc_u32 s12, 0, s12
	s_add_u32 s8, s8, s11
	s_mul_hi_u32 s13, s7, s9
	s_addc_u32 s8, s12, s10
	s_addc_u32 s10, s13, 0
	s_mul_i32 s9, s7, s9
	s_add_u32 s8, s8, s9
	v_mov_b32_e32 v1, s8
	s_addc_u32 s9, 0, s10
	v_add_co_u32_e32 v1, vcc, s6, v1
	s_cmp_lg_u64 vcc, 0
	s_addc_u32 s6, s7, s9
	v_readfirstlane_b32 s9, v1
	s_mul_i32 s8, s4, s6
	s_mul_hi_u32 s10, s4, s9
	s_mul_hi_u32 s7, s4, s6
	s_add_u32 s8, s10, s8
	s_addc_u32 s7, 0, s7
	s_mul_hi_u32 s11, s5, s9
	s_mul_i32 s9, s5, s9
	s_add_u32 s8, s8, s9
	s_mul_hi_u32 s10, s5, s6
	s_addc_u32 s7, s7, s11
	s_addc_u32 s8, s10, 0
	s_mul_i32 s6, s5, s6
	s_add_u32 s6, s7, s6
	s_addc_u32 s7, 0, s8
	s_add_u32 s8, s6, 1
	s_addc_u32 s9, s7, 0
	s_add_u32 s10, s6, 2
	s_mul_i32 s12, s7, 12
	s_mul_hi_u32 s13, s6, 12
	s_addc_u32 s11, s7, 0
	s_add_i32 s13, s13, s12
	s_mul_i32 s12, s6, 12
	v_mov_b32_e32 v1, s12
	v_sub_co_u32_e32 v1, vcc, s4, v1
	s_cmp_lg_u64 vcc, 0
	s_subb_u32 s4, s5, s13
	v_subrev_co_u32_e32 v2, vcc, 12, v1
	s_cmp_lg_u64 vcc, 0
	s_subb_u32 s5, s4, 0
	v_readfirstlane_b32 s12, v2
	s_cmp_gt_u32 s12, 11
	s_cselect_b32 s12, -1, 0
	s_cmp_eq_u32 s5, 0
	s_cselect_b32 s5, s12, -1
	s_cmp_lg_u32 s5, 0
	s_cselect_b32 s5, s10, s8
	s_cselect_b32 s8, s11, s9
	v_readfirstlane_b32 s9, v1
	s_cmp_gt_u32 s9, 11
	s_cselect_b32 s9, -1, 0
	s_cmp_eq_u32 s4, 0
	s_cselect_b32 s4, s9, -1
	s_cmp_lg_u32 s4, 0
	s_cselect_b32 s5, s5, s6
	s_cselect_b32 s4, s8, s7
	s_add_u32 s36, s5, 1
	s_addc_u32 s37, s4, 0
	v_mov_b64_e32 v[2:3], s[36:37]
	v_cmp_lt_u64_e32 vcc, s[2:3], v[2:3]
	s_cbranch_vccnz .LBB0_2
; %bb.1:
	v_cvt_f32_u32_e32 v1, s36
	s_sub_i32 s4, 0, s36
	s_mov_b32 s29, s3
	v_rcp_iflag_f32_e32 v1, v1
	s_nop 0
	v_mul_f32_e32 v1, 0x4f7ffffe, v1
	v_cvt_u32_f32_e32 v1, v1
	s_nop 0
	v_readfirstlane_b32 s5, v1
	s_mul_i32 s4, s4, s5
	s_mul_hi_u32 s4, s5, s4
	s_add_i32 s5, s5, s4
	s_mul_hi_u32 s4, s2, s5
	s_mul_i32 s6, s4, s36
	s_sub_i32 s6, s2, s6
	s_add_i32 s5, s4, 1
	s_sub_i32 s7, s6, s36
	s_cmp_ge_u32 s6, s36
	s_cselect_b32 s4, s5, s4
	s_cselect_b32 s6, s7, s6
	s_add_i32 s5, s4, 1
	s_cmp_ge_u32 s6, s36
	s_cselect_b32 s28, s5, s4
.LBB0_2:
	s_load_dwordx4 s[8:11], s[0:1], 0x60
	s_load_dwordx4 s[16:19], s[22:23], 0x0
	;; [unrolled: 1-line block ×3, first 2 shown]
	s_load_dwordx2 s[26:27], s[0:1], 0x0
	s_load_dwordx4 s[12:15], s[0:1], 0x8
	s_mul_i32 s0, s28, s37
	s_mul_hi_u32 s1, s28, s36
	s_add_i32 s1, s1, s0
	s_mul_i32 s0, s28, s36
	s_sub_u32 s0, s2, s0
	s_subb_u32 s1, 0, s1
	s_mul_i32 s1, s1, 12
	s_mul_hi_u32 s30, s0, 12
	s_add_i32 s31, s30, s1
	s_mul_i32 s30, s0, 12
	s_waitcnt lgkmcnt(0)
	s_mul_i32 s0, s18, s31
	s_mul_hi_u32 s1, s18, s30
	s_add_i32 s0, s1, s0
	s_mul_i32 s1, s19, s30
	s_add_i32 s51, s0, s1
	s_mul_i32 s0, s6, s31
	s_mul_hi_u32 s1, s6, s30
	s_add_i32 s0, s1, s0
	s_mul_i32 s1, s7, s30
	s_add_i32 s33, s0, s1
	v_cmp_lt_u64_e64 s[0:1], s[14:15], 3
	s_mul_i32 s52, s18, s30
	s_mul_i32 s50, s6, s30
	s_and_b64 vcc, exec, s[0:1]
	s_cbranch_vccnz .LBB0_12
; %bb.3:
	s_add_u32 s38, s34, 16
	s_addc_u32 s39, s35, 0
	s_add_u32 s40, s22, 16
	s_addc_u32 s41, s23, 0
	;; [unrolled: 2-line block ×3, first 2 shown]
	s_mov_b64 s[42:43], 2
	s_mov_b32 s44, 0
	v_mov_b64_e32 v[2:3], s[14:15]
.LBB0_4:                                ; =>This Inner Loop Header: Depth=1
	s_load_dwordx2 s[46:47], s[20:21], 0x0
	s_waitcnt lgkmcnt(0)
	s_or_b64 s[0:1], s[28:29], s[46:47]
	s_mov_b32 s45, s1
	s_cmp_lg_u64 s[44:45], 0
	s_cbranch_scc0 .LBB0_9
; %bb.5:                                ;   in Loop: Header=BB0_4 Depth=1
	v_cvt_f32_u32_e32 v1, s46
	v_cvt_f32_u32_e32 v4, s47
	s_sub_u32 s0, 0, s46
	s_subb_u32 s1, 0, s47
	v_fmac_f32_e32 v1, 0x4f800000, v4
	v_rcp_f32_e32 v1, v1
	s_nop 0
	v_mul_f32_e32 v1, 0x5f7ffffc, v1
	v_mul_f32_e32 v4, 0x2f800000, v1
	v_trunc_f32_e32 v4, v4
	v_fmac_f32_e32 v1, 0xcf800000, v4
	v_cvt_u32_f32_e32 v4, v4
	v_cvt_u32_f32_e32 v1, v1
	v_readfirstlane_b32 s45, v4
	v_readfirstlane_b32 s48, v1
	s_mul_i32 s49, s0, s45
	s_mul_hi_u32 s54, s0, s48
	s_mul_i32 s53, s1, s48
	s_add_i32 s49, s54, s49
	s_mul_i32 s55, s0, s48
	s_add_i32 s49, s49, s53
	s_mul_hi_u32 s53, s48, s49
	s_mul_i32 s54, s48, s49
	s_mul_hi_u32 s48, s48, s55
	s_add_u32 s48, s48, s54
	s_addc_u32 s53, 0, s53
	s_mul_hi_u32 s56, s45, s55
	s_mul_i32 s55, s45, s55
	s_add_u32 s48, s48, s55
	s_mul_hi_u32 s54, s45, s49
	s_addc_u32 s48, s53, s56
	s_addc_u32 s53, s54, 0
	s_mul_i32 s49, s45, s49
	s_add_u32 s48, s48, s49
	s_addc_u32 s49, 0, s53
	v_add_co_u32_e32 v1, vcc, s48, v1
	s_cmp_lg_u64 vcc, 0
	s_addc_u32 s45, s45, s49
	v_readfirstlane_b32 s49, v1
	s_mul_i32 s48, s0, s45
	s_mul_hi_u32 s53, s0, s49
	s_add_i32 s48, s53, s48
	s_mul_i32 s1, s1, s49
	s_add_i32 s48, s48, s1
	s_mul_i32 s0, s0, s49
	s_mul_hi_u32 s53, s45, s0
	s_mul_i32 s54, s45, s0
	s_mul_i32 s56, s49, s48
	s_mul_hi_u32 s0, s49, s0
	s_mul_hi_u32 s55, s49, s48
	s_add_u32 s0, s0, s56
	s_addc_u32 s49, 0, s55
	s_add_u32 s0, s0, s54
	s_mul_hi_u32 s1, s45, s48
	s_addc_u32 s0, s49, s53
	s_addc_u32 s1, s1, 0
	s_mul_i32 s48, s45, s48
	s_add_u32 s0, s0, s48
	s_addc_u32 s1, 0, s1
	v_add_co_u32_e32 v1, vcc, s0, v1
	s_cmp_lg_u64 vcc, 0
	s_addc_u32 s0, s45, s1
	v_readfirstlane_b32 s48, v1
	s_mul_i32 s45, s28, s0
	s_mul_hi_u32 s49, s28, s48
	s_mul_hi_u32 s1, s28, s0
	s_add_u32 s45, s49, s45
	s_addc_u32 s1, 0, s1
	s_mul_hi_u32 s53, s29, s48
	s_mul_i32 s48, s29, s48
	s_add_u32 s45, s45, s48
	s_mul_hi_u32 s49, s29, s0
	s_addc_u32 s1, s1, s53
	s_addc_u32 s45, s49, 0
	s_mul_i32 s0, s29, s0
	s_add_u32 s48, s1, s0
	s_addc_u32 s45, 0, s45
	s_mul_i32 s0, s46, s45
	s_mul_hi_u32 s1, s46, s48
	s_add_i32 s0, s1, s0
	s_mul_i32 s1, s47, s48
	s_add_i32 s49, s0, s1
	s_mul_i32 s1, s46, s48
	v_mov_b32_e32 v1, s1
	s_sub_i32 s0, s29, s49
	v_sub_co_u32_e32 v1, vcc, s28, v1
	s_cmp_lg_u64 vcc, 0
	s_subb_u32 s53, s0, s47
	v_subrev_co_u32_e64 v4, s[0:1], s46, v1
	s_cmp_lg_u64 s[0:1], 0
	s_subb_u32 s0, s53, 0
	s_cmp_ge_u32 s0, s47
	v_readfirstlane_b32 s53, v4
	s_cselect_b32 s1, -1, 0
	s_cmp_ge_u32 s53, s46
	s_cselect_b32 s53, -1, 0
	s_cmp_eq_u32 s0, s47
	s_cselect_b32 s0, s53, s1
	s_add_u32 s1, s48, 1
	s_addc_u32 s53, s45, 0
	s_add_u32 s54, s48, 2
	s_addc_u32 s55, s45, 0
	s_cmp_lg_u32 s0, 0
	s_cselect_b32 s0, s54, s1
	s_cselect_b32 s1, s55, s53
	s_cmp_lg_u64 vcc, 0
	s_subb_u32 s49, s29, s49
	s_cmp_ge_u32 s49, s47
	v_readfirstlane_b32 s54, v1
	s_cselect_b32 s53, -1, 0
	s_cmp_ge_u32 s54, s46
	s_cselect_b32 s54, -1, 0
	s_cmp_eq_u32 s49, s47
	s_cselect_b32 s49, s54, s53
	s_cmp_lg_u32 s49, 0
	s_cselect_b32 s1, s1, s45
	s_cselect_b32 s0, s0, s48
	s_cbranch_execnz .LBB0_7
.LBB0_6:                                ;   in Loop: Header=BB0_4 Depth=1
	v_cvt_f32_u32_e32 v1, s46
	s_sub_i32 s0, 0, s46
	v_rcp_iflag_f32_e32 v1, v1
	s_nop 0
	v_mul_f32_e32 v1, 0x4f7ffffe, v1
	v_cvt_u32_f32_e32 v1, v1
	s_nop 0
	v_readfirstlane_b32 s1, v1
	s_mul_i32 s0, s0, s1
	s_mul_hi_u32 s0, s1, s0
	s_add_i32 s1, s1, s0
	s_mul_hi_u32 s0, s28, s1
	s_mul_i32 s45, s0, s46
	s_sub_i32 s45, s28, s45
	s_add_i32 s1, s0, 1
	s_sub_i32 s48, s45, s46
	s_cmp_ge_u32 s45, s46
	s_cselect_b32 s0, s1, s0
	s_cselect_b32 s45, s48, s45
	s_add_i32 s1, s0, 1
	s_cmp_ge_u32 s45, s46
	s_cselect_b32 s0, s1, s0
	s_mov_b32 s1, s44
.LBB0_7:                                ;   in Loop: Header=BB0_4 Depth=1
	s_mul_i32 s37, s46, s37
	s_mul_hi_u32 s45, s46, s36
	s_add_i32 s37, s45, s37
	s_mul_i32 s45, s47, s36
	s_add_i32 s37, s37, s45
	s_mul_i32 s45, s0, s47
	s_mul_hi_u32 s47, s0, s46
	s_load_dwordx2 s[48:49], s[40:41], 0x0
	s_add_i32 s45, s47, s45
	s_mul_i32 s47, s1, s46
	s_mul_i32 s36, s46, s36
	s_add_i32 s45, s45, s47
	s_mul_i32 s46, s0, s46
	s_sub_u32 s46, s28, s46
	s_subb_u32 s45, s29, s45
	s_waitcnt lgkmcnt(0)
	s_mul_i32 s28, s48, s45
	s_mul_hi_u32 s29, s48, s46
	s_add_i32 s47, s29, s28
	s_load_dwordx2 s[28:29], s[38:39], 0x0
	s_mul_i32 s49, s49, s46
	s_add_i32 s47, s47, s49
	s_mul_i32 s48, s48, s46
	s_add_u32 s52, s48, s52
	s_addc_u32 s51, s47, s51
	s_waitcnt lgkmcnt(0)
	s_mul_i32 s45, s28, s45
	s_mul_hi_u32 s47, s28, s46
	s_add_i32 s45, s47, s45
	s_mul_i32 s29, s29, s46
	s_add_i32 s45, s45, s29
	s_mul_i32 s28, s28, s46
	s_add_u32 s50, s28, s50
	s_addc_u32 s33, s45, s33
	s_add_u32 s42, s42, 1
	s_addc_u32 s43, s43, 0
	;; [unrolled: 2-line block ×4, first 2 shown]
	s_add_u32 s20, s20, 8
	v_cmp_ge_u64_e32 vcc, s[42:43], v[2:3]
	s_addc_u32 s21, s21, 0
	s_cbranch_vccnz .LBB0_10
; %bb.8:                                ;   in Loop: Header=BB0_4 Depth=1
	s_mov_b64 s[28:29], s[0:1]
	s_branch .LBB0_4
.LBB0_9:                                ;   in Loop: Header=BB0_4 Depth=1
                                        ; implicit-def: $sgpr0_sgpr1
	s_branch .LBB0_6
.LBB0_10:
	v_mov_b64_e32 v[2:3], s[36:37]
	v_cmp_lt_u64_e32 vcc, s[2:3], v[2:3]
	s_mov_b64 s[28:29], 0
	s_cbranch_vccnz .LBB0_12
; %bb.11:
	v_cvt_f32_u32_e32 v1, s36
	s_sub_i32 s0, 0, s36
	v_rcp_iflag_f32_e32 v1, v1
	s_nop 0
	v_mul_f32_e32 v1, 0x4f7ffffe, v1
	v_cvt_u32_f32_e32 v1, v1
	s_nop 0
	v_readfirstlane_b32 s1, v1
	s_mul_i32 s0, s0, s1
	s_mul_hi_u32 s0, s1, s0
	s_add_i32 s1, s1, s0
	s_mul_hi_u32 s0, s2, s1
	s_mul_i32 s3, s0, s36
	s_sub_i32 s2, s2, s3
	s_add_i32 s1, s0, 1
	s_sub_i32 s3, s2, s36
	s_cmp_ge_u32 s2, s36
	s_cselect_b32 s0, s1, s0
	s_cselect_b32 s2, s3, s2
	s_add_i32 s1, s0, 1
	s_cmp_ge_u32 s2, s36
	s_cselect_b32 s28, s1, s0
.LBB0_12:
	s_lshl_b64 s[0:1], s[14:15], 3
	s_add_u32 s2, s22, s0
	s_addc_u32 s3, s23, s1
	s_load_dwordx2 s[2:3], s[2:3], 0x0
	v_mul_u32_u24_e32 v1, 0x1556, v0
	v_lshrrev_b32_e32 v14, 16, v1
	v_mov_b64_e32 v[2:3], s[24:25]
	v_mul_lo_u16_e32 v1, 12, v14
	s_waitcnt lgkmcnt(0)
	s_mul_i32 s3, s3, s28
	s_mul_hi_u32 s14, s2, s28
	s_mul_i32 s2, s2, s28
	s_add_i32 s14, s14, s3
	s_add_u32 s2, s2, s52
	s_addc_u32 s3, s14, s51
	s_add_u32 s0, s34, s0
	s_addc_u32 s1, s35, s1
	s_load_dwordx2 s[14:15], s[0:1], 0x0
	s_add_u32 s0, s30, 12
	s_addc_u32 s1, s31, 0
	v_cmp_le_u64_e64 s[0:1], s[0:1], v[2:3]
	v_sub_u16_e32 v4, v0, v1
	v_mov_b32_e32 v5, 0
	s_and_b64 vcc, exec, s[0:1]
	v_add_u32_e32 v15, 40, v14
	v_add_u32_e32 v1, 16, v14
	s_cbranch_vccz .LBB0_16
; %bb.13:
	v_mad_u64_u32 v[2:3], s[20:21], s18, v4, 0
	v_mov_b32_e32 v6, v3
	v_mad_u64_u32 v[6:7], s[20:21], s19, v4, v[6:7]
	v_mov_b32_e32 v3, v6
	;; [unrolled: 2-line block ×3, first 2 shown]
	v_mad_u64_u32 v[8:9], s[20:21], s17, v14, v[8:9]
	s_lshl_b64 s[20:21], s[2:3], 2
	s_add_u32 s20, s8, s20
	s_addc_u32 s21, s9, s21
	v_mov_b32_e32 v7, v8
	v_lshl_add_u64 v[2:3], v[2:3], 2, s[20:21]
	v_mad_u64_u32 v[8:9], s[20:21], s16, v15, 0
	v_mov_b32_e32 v10, v9
	v_mad_u64_u32 v[10:11], s[20:21], s17, v15, v[10:11]
	v_mov_b32_e32 v9, v10
	v_add_u32_e32 v11, 0x50, v14
	v_lshl_add_u64 v[20:21], v[8:9], 2, v[2:3]
	v_mad_u64_u32 v[8:9], s[20:21], s16, v11, 0
	v_mov_b32_e32 v10, v9
	v_mad_u64_u32 v[10:11], s[20:21], s17, v11, v[10:11]
	v_mov_b32_e32 v9, v10
	v_add_u32_e32 v11, 0x78, v14
	;; [unrolled: 6-line block ×4, first 2 shown]
	v_lshl_add_u64 v[26:27], v[8:9], 2, v[2:3]
	v_mad_u64_u32 v[8:9], s[20:21], s16, v11, 0
	v_mov_b32_e32 v10, v9
	v_mad_u64_u32 v[10:11], s[20:21], s17, v11, v[10:11]
	v_mov_b32_e32 v9, v10
	v_or_b32_e32 v11, 0x60, v14
	v_lshl_add_u64 v[28:29], v[8:9], 2, v[2:3]
	v_mad_u64_u32 v[8:9], s[20:21], s16, v11, 0
	v_mov_b32_e32 v10, v9
	v_mad_u64_u32 v[10:11], s[20:21], s17, v11, v[10:11]
	v_mov_b32_e32 v9, v10
	v_add_u32_e32 v11, 0x88, v14
	v_lshl_add_u64 v[30:31], v[8:9], 2, v[2:3]
	v_mad_u64_u32 v[8:9], s[20:21], s16, v11, 0
	v_mov_b32_e32 v10, v9
	v_mad_u64_u32 v[10:11], s[20:21], s17, v11, v[10:11]
	v_lshl_add_u64 v[6:7], v[6:7], 2, v[2:3]
	v_mov_b32_e32 v9, v10
	v_lshl_add_u64 v[32:33], v[8:9], 2, v[2:3]
	global_load_dword v11, v[6:7], off
	global_load_dword v9, v[20:21], off
	;; [unrolled: 1-line block ×8, first 2 shown]
	s_movk_i32 s20, 0x60
	v_cmp_gt_u32_e32 vcc, s20, v0
                                        ; implicit-def: $vgpr20
                                        ; implicit-def: $vgpr19
                                        ; implicit-def: $vgpr22
                                        ; implicit-def: $vgpr21
	s_and_saveexec_b64 s[20:21], vcc
	s_cbranch_execz .LBB0_15
; %bb.14:
	v_or_b32_e32 v19, 32, v14
	v_mad_u64_u32 v[6:7], s[22:23], s16, v19, 0
	v_mov_b32_e32 v20, v7
	v_mad_u64_u32 v[20:21], s[22:23], s17, v19, v[20:21]
	v_add_u32_e32 v19, 0x48, v14
	v_mov_b32_e32 v7, v20
	v_mad_u64_u32 v[20:21], s[22:23], s16, v19, 0
	v_mov_b32_e32 v22, v21
	v_mad_u64_u32 v[22:23], s[22:23], s17, v19, v[22:23]
	v_mov_b32_e32 v21, v22
	v_or_b32_e32 v19, 0x70, v14
	v_lshl_add_u64 v[24:25], v[20:21], 2, v[2:3]
	v_mad_u64_u32 v[20:21], s[22:23], s16, v19, 0
	v_mov_b32_e32 v22, v21
	v_mad_u64_u32 v[22:23], s[22:23], s17, v19, v[22:23]
	v_mov_b32_e32 v21, v22
	v_add_u32_e32 v19, 0x98, v14
	v_lshl_add_u64 v[26:27], v[20:21], 2, v[2:3]
	v_mad_u64_u32 v[20:21], s[22:23], s16, v19, 0
	v_mov_b32_e32 v22, v21
	v_mad_u64_u32 v[22:23], s[22:23], s17, v19, v[22:23]
	v_lshl_add_u64 v[6:7], v[6:7], 2, v[2:3]
	v_mov_b32_e32 v21, v22
	v_lshl_add_u64 v[2:3], v[20:21], 2, v[2:3]
	global_load_dword v21, v[6:7], off
	global_load_dword v19, v[24:25], off
	;; [unrolled: 1-line block ×4, first 2 shown]
.LBB0_15:
	s_or_b64 exec, exec, s[20:21]
	v_lshl_add_u64 v[6:7], s[30:31], 0, v[4:5]
	s_cbranch_execz .LBB0_17
	s_branch .LBB0_24
.LBB0_16:
                                        ; implicit-def: $vgpr17
                                        ; implicit-def: $vgpr9
                                        ; implicit-def: $vgpr18
                                        ; implicit-def: $vgpr11
                                        ; implicit-def: $vgpr10
                                        ; implicit-def: $vgpr8
                                        ; implicit-def: $vgpr13
                                        ; implicit-def: $vgpr12
                                        ; implicit-def: $vgpr20
                                        ; implicit-def: $vgpr19
                                        ; implicit-def: $vgpr22
                                        ; implicit-def: $vgpr21
                                        ; implicit-def: $vgpr16
	v_lshl_add_u64 v[6:7], s[30:31], 0, v[4:5]
.LBB0_17:
	v_cmp_le_u64_e32 vcc, s[24:25], v[6:7]
                                        ; implicit-def: $vgpr16
	s_and_saveexec_b64 s[20:21], vcc
	s_xor_b64 s[20:21], exec, s[20:21]
; %bb.18:
	v_add_u32_e32 v16, 16, v14
                                        ; implicit-def: $vgpr1
; %bb.19:
	s_or_saveexec_b64 s[20:21], s[20:21]
                                        ; implicit-def: $vgpr17
                                        ; implicit-def: $vgpr9
                                        ; implicit-def: $vgpr18
                                        ; implicit-def: $vgpr11
                                        ; implicit-def: $vgpr10
                                        ; implicit-def: $vgpr8
                                        ; implicit-def: $vgpr13
                                        ; implicit-def: $vgpr12
                                        ; implicit-def: $vgpr20
                                        ; implicit-def: $vgpr19
                                        ; implicit-def: $vgpr22
                                        ; implicit-def: $vgpr21
	s_xor_b64 exec, exec, s[20:21]
	s_cbranch_execz .LBB0_23
; %bb.20:
	v_mad_u64_u32 v[2:3], s[22:23], s18, v4, 0
	s_waitcnt vmcnt(2)
	v_mov_b32_e32 v8, v3
	v_mad_u64_u32 v[8:9], s[18:19], s19, v4, v[8:9]
	v_mov_b32_e32 v3, v8
	v_mad_u64_u32 v[8:9], s[18:19], s16, v14, 0
	s_lshl_b64 s[2:3], s[2:3], 2
	s_waitcnt vmcnt(0)
	v_mov_b32_e32 v10, v9
	s_add_u32 s2, s8, s2
	v_mad_u64_u32 v[10:11], s[18:19], s17, v14, v[10:11]
	s_addc_u32 s3, s9, s3
	v_mov_b32_e32 v9, v10
	v_lshl_add_u64 v[2:3], v[2:3], 2, s[2:3]
	v_lshl_add_u64 v[20:21], v[8:9], 2, v[2:3]
	v_mad_u64_u32 v[8:9], s[2:3], s16, v15, 0
	v_mov_b32_e32 v10, v9
	v_mad_u64_u32 v[10:11], s[2:3], s17, v15, v[10:11]
	v_mov_b32_e32 v9, v10
	v_add_u32_e32 v5, 0x50, v14
	v_lshl_add_u64 v[22:23], v[8:9], 2, v[2:3]
	v_mad_u64_u32 v[8:9], s[2:3], s16, v5, 0
	v_mov_b32_e32 v10, v9
	v_mad_u64_u32 v[10:11], s[2:3], s17, v5, v[10:11]
	v_mov_b32_e32 v9, v10
	v_add_u32_e32 v5, 0x78, v14
	v_lshl_add_u64 v[24:25], v[8:9], 2, v[2:3]
	v_mad_u64_u32 v[8:9], s[2:3], s16, v5, 0
	v_mov_b32_e32 v10, v9
	v_mad_u64_u32 v[10:11], s[2:3], s17, v5, v[10:11]
	v_mov_b32_e32 v9, v10
	v_lshl_add_u64 v[26:27], v[8:9], 2, v[2:3]
	v_mad_u64_u32 v[8:9], s[2:3], s16, v1, 0
	v_mov_b32_e32 v10, v9
	v_mad_u64_u32 v[10:11], s[2:3], s17, v1, v[10:11]
	v_mov_b32_e32 v9, v10
	v_add_u32_e32 v5, 56, v14
	v_lshl_add_u64 v[28:29], v[8:9], 2, v[2:3]
	v_mad_u64_u32 v[8:9], s[2:3], s16, v5, 0
	v_mov_b32_e32 v10, v9
	v_mad_u64_u32 v[10:11], s[2:3], s17, v5, v[10:11]
	v_mov_b32_e32 v9, v10
	v_or_b32_e32 v5, 0x60, v14
	v_lshl_add_u64 v[30:31], v[8:9], 2, v[2:3]
	v_mad_u64_u32 v[8:9], s[2:3], s16, v5, 0
	v_mov_b32_e32 v10, v9
	v_mad_u64_u32 v[10:11], s[2:3], s17, v5, v[10:11]
	v_mov_b32_e32 v9, v10
	v_add_u32_e32 v5, 0x88, v14
	v_lshl_add_u64 v[32:33], v[8:9], 2, v[2:3]
	v_mad_u64_u32 v[8:9], s[2:3], s16, v5, 0
	v_mov_b32_e32 v10, v9
	v_mad_u64_u32 v[10:11], s[2:3], s17, v5, v[10:11]
	v_mov_b32_e32 v9, v10
	v_lshl_add_u64 v[34:35], v[8:9], 2, v[2:3]
	global_load_dword v11, v[20:21], off
	global_load_dword v9, v[22:23], off
	;; [unrolled: 1-line block ×8, first 2 shown]
	s_movk_i32 s2, 0x60
	v_cmp_gt_u32_e32 vcc, s2, v0
                                        ; implicit-def: $vgpr20
                                        ; implicit-def: $vgpr19
                                        ; implicit-def: $vgpr22
                                        ; implicit-def: $vgpr21
	s_and_saveexec_b64 s[2:3], vcc
	s_cbranch_execz .LBB0_22
; %bb.21:
	v_or_b32_e32 v5, 32, v14
	v_mad_u64_u32 v[20:21], s[8:9], s16, v5, 0
	v_mov_b32_e32 v16, v21
	s_waitcnt vmcnt(4)
	v_mad_u64_u32 v[22:23], s[8:9], s17, v5, v[16:17]
	v_mov_b32_e32 v21, v22
	v_add_u32_e32 v5, 0x48, v14
	v_lshl_add_u64 v[24:25], v[20:21], 2, v[2:3]
	v_mad_u64_u32 v[20:21], s[8:9], s16, v5, 0
	v_mov_b32_e32 v16, v21
	v_mad_u64_u32 v[22:23], s[8:9], s17, v5, v[16:17]
	v_mov_b32_e32 v21, v22
	v_or_b32_e32 v5, 0x70, v14
	v_lshl_add_u64 v[26:27], v[20:21], 2, v[2:3]
	v_mad_u64_u32 v[20:21], s[8:9], s16, v5, 0
	v_mov_b32_e32 v16, v21
	v_mad_u64_u32 v[22:23], s[8:9], s17, v5, v[16:17]
	v_mov_b32_e32 v21, v22
	v_add_u32_e32 v5, 0x98, v14
	v_lshl_add_u64 v[28:29], v[20:21], 2, v[2:3]
	v_mad_u64_u32 v[20:21], s[8:9], s16, v5, 0
	v_mov_b32_e32 v16, v21
	v_mad_u64_u32 v[22:23], s[8:9], s17, v5, v[16:17]
	v_mov_b32_e32 v21, v22
	v_lshl_add_u64 v[2:3], v[20:21], 2, v[2:3]
	global_load_dword v21, v[24:25], off
	global_load_dword v19, v[26:27], off
	;; [unrolled: 1-line block ×4, first 2 shown]
.LBB0_22:
	s_or_b64 exec, exec, s[2:3]
	v_mov_b32_e32 v16, v1
.LBB0_23:
	s_or_b64 exec, exec, s[20:21]
.LBB0_24:
	s_waitcnt vmcnt(5)
	v_pk_add_f16 v18, v11, v18 neg_lo:[0,1] neg_hi:[0,1]
	s_waitcnt vmcnt(4)
	v_pk_add_f16 v17, v9, v17 neg_lo:[0,1] neg_hi:[0,1]
	s_mov_b32 s16, 0xffff
	v_pk_add_f16 v23, v18, v17 op_sel:[0,1] op_sel_hi:[1,0]
	v_pk_add_f16 v24, v18, v17 op_sel:[0,1] op_sel_hi:[1,0] neg_lo:[0,1] neg_hi:[0,1]
	v_pk_fma_f16 v11, v11, 2.0, v18 op_sel_hi:[1,0,1] neg_lo:[0,0,1] neg_hi:[0,0,1]
	v_pk_fma_f16 v9, v9, 2.0, v17 op_sel_hi:[1,0,1] neg_lo:[0,0,1] neg_hi:[0,0,1]
	s_waitcnt vmcnt(1)
	v_pk_add_f16 v22, v21, v22 neg_lo:[0,1] neg_hi:[0,1]
	s_waitcnt vmcnt(0)
	v_pk_add_f16 v1, v19, v20 neg_lo:[0,1] neg_hi:[0,1]
	v_bfi_b32 v23, s16, v23, v24
	v_pk_add_f16 v9, v11, v9 neg_lo:[0,1] neg_hi:[0,1]
	v_pk_fma_f16 v20, v21, 2.0, v22 op_sel_hi:[1,0,1] neg_lo:[0,0,1] neg_hi:[0,0,1]
	v_pk_fma_f16 v2, v19, 2.0, v1 op_sel_hi:[1,0,1] neg_lo:[0,0,1] neg_hi:[0,0,1]
	v_pk_fma_f16 v24, v18, 2.0, v23 op_sel_hi:[1,0,1] neg_lo:[0,0,1] neg_hi:[0,0,1]
	v_lshrrev_b32_e32 v17, 16, v11
	v_lshrrev_b32_e32 v18, 16, v9
	v_pk_add_f16 v5, v20, v2 neg_lo:[0,1] neg_hi:[0,1]
	v_mul_u32_u24_e32 v2, 48, v14
	v_fma_f16 v17, v17, 2.0, -v18
	v_lshl_add_u32 v19, v2, 2, 0
	v_lshlrev_b32_e32 v2, 2, v4
	v_fma_f16 v11, v11, 2.0, -v9
	v_lshlrev_b32_e32 v17, 16, v17
	v_add_u32_e32 v21, v19, v2
	v_or_b32_sdwa v11, v17, v11 dst_sel:DWORD dst_unused:UNUSED_PAD src0_sel:DWORD src1_sel:WORD_0
	v_pk_add_f16 v13, v12, v13 neg_lo:[0,1] neg_hi:[0,1]
	v_pk_add_f16 v10, v8, v10 neg_lo:[0,1] neg_hi:[0,1]
	ds_write2_b32 v21, v11, v24 offset1:12
	ds_write2_b32 v21, v9, v23 offset0:24 offset1:36
	s_movk_i32 s2, 0xc0
	v_alignbit_b32 v17, s0, v10, 16
	v_alignbit_b32 v21, s0, v13, 16
	v_mul_lo_u32 v9, v16, s2
	v_pk_fma_f16 v12, v12, 2.0, v13 op_sel_hi:[1,0,1] neg_lo:[0,0,1] neg_hi:[0,0,1]
	v_pk_fma_f16 v8, v8, 2.0, v10 op_sel_hi:[1,0,1] neg_lo:[0,0,1] neg_hi:[0,0,1]
	v_pk_add_f16 v17, v13, v17
	v_lshrrev_b32_e32 v18, 16, v13
	v_pk_add_f16 v10, v21, v10 neg_lo:[0,1] neg_hi:[0,1]
	v_add_u32_e32 v9, 0, v9
	v_pk_add_f16 v8, v12, v8 neg_lo:[0,1] neg_hi:[0,1]
	v_fma_f16 v13, v13, 2.0, -v17
	v_fma_f16 v18, v18, 2.0, -v10
	s_movk_i32 s2, 0x60
	v_pk_add_f16 v3, v22, v1 op_sel:[0,1] op_sel_hi:[1,0]
	v_pk_add_f16 v1, v22, v1 op_sel:[0,1] op_sel_hi:[1,0] neg_lo:[0,1] neg_hi:[0,1]
	v_add_u32_e32 v11, v9, v2
	v_pk_fma_f16 v12, v12, 2.0, v8 op_sel_hi:[1,0,1] neg_lo:[0,0,1] neg_hi:[0,0,1]
	v_pack_b32_f16 v13, v13, v18
	v_pack_b32_f16 v10, v17, v10
	v_cmp_gt_u32_e64 s[2:3], s2, v0
	ds_write2_b32 v11, v12, v13 offset1:12
	ds_write2_b32 v11, v8, v10 offset0:24 offset1:36
	s_and_saveexec_b64 s[8:9], s[2:3]
	s_cbranch_execz .LBB0_26
; %bb.25:
	v_bfi_b32 v0, s16, v3, v1
	v_lshl_add_u32 v8, v4, 2, v19
	v_pk_fma_f16 v10, v20, 2.0, v5 op_sel_hi:[1,0,1] neg_lo:[0,0,1] neg_hi:[0,0,1]
	v_pk_fma_f16 v11, v22, 2.0, v0 op_sel_hi:[1,0,1] neg_lo:[0,0,1] neg_hi:[0,0,1]
	v_add_u32_e32 v8, 0x1800, v8
	ds_write2_b32 v8, v10, v11 offset1:12
	ds_write2_b32 v8, v5, v0 offset0:24 offset1:36
.LBB0_26:
	s_or_b64 exec, exec, s[8:9]
	v_and_b32_e32 v28, 3, v14
	v_mul_u32_u24_e32 v0, 9, v28
	v_lshlrev_b32_e32 v0, 2, v0
	s_waitcnt lgkmcnt(0)
	s_barrier
	global_load_dwordx4 v[10:13], v0, s[26:27]
	global_load_dwordx4 v[20:23], v0, s[26:27] offset:16
	global_load_dword v17, v0, s[26:27] offset:32
	v_mul_i32_i24_e32 v0, 0xffffff70, v14
	s_movk_i32 s8, 0xff70
	v_add3_u32 v0, v19, v0, v2
	v_mul_lo_u32 v8, v16, s8
	ds_read2st64_b32 v[18:19], v0 offset1:6
	v_add3_u32 v29, v9, v8, v2
	ds_read2st64_b32 v[8:9], v0 offset0:9 offset1:12
	ds_read2st64_b32 v[24:25], v0 offset0:15 offset1:18
	;; [unrolled: 1-line block ×3, first 2 shown]
	ds_read_b32 v30, v29
	ds_read_b32 v31, v0 offset:6912
	s_mov_b32 s9, 0x5040100
	s_mov_b32 s16, 0x7060302
	s_waitcnt lgkmcnt(3)
	v_lshrrev_b32_e32 v33, 16, v25
	s_waitcnt lgkmcnt(2)
	v_lshrrev_b32_e32 v35, 16, v27
	v_perm_b32 v36, v19, v9, s9
	v_lshrrev_b32_e32 v39, 16, v24
	v_perm_b32 v40, v8, v24, s16
	v_perm_b32 v41, v8, v24, s9
	v_lshrrev_b32_e32 v34, 16, v26
	v_perm_b32 v37, v19, v9, s16
	s_waitcnt lgkmcnt(0)
	v_lshrrev_b32_e32 v42, 16, v31
	s_mov_b32 s17, 0xbb9c
	s_movk_i32 s20, 0x3b9c
	s_mov_b32 s18, 0xb8b4
	s_movk_i32 s21, 0x38b4
	s_movk_i32 s19, 0x34f2
	v_lshrrev_b32_e32 v32, 16, v18
	v_lshrrev_b32_e32 v38, 16, v8
	s_movk_i32 s8, 0x3a79
	s_barrier
	s_waitcnt vmcnt(2)
	v_mul_f16_sdwa v45, v11, v19 dst_sel:DWORD dst_unused:UNUSED_PAD src0_sel:WORD_1 src1_sel:WORD_1
	v_mul_f16_sdwa v46, v13, v9 dst_sel:DWORD dst_unused:UNUSED_PAD src0_sel:WORD_1 src1_sel:WORD_1
	v_perm_b32 v48, v11, v13, s16
	s_waitcnt vmcnt(1)
	v_mul_f16_sdwa v24, v20, v24 dst_sel:DWORD dst_unused:UNUSED_PAD src0_sel:WORD_1 src1_sel:DWORD
	v_mul_f16_sdwa v51, v33, v21 dst_sel:DWORD dst_unused:UNUSED_PAD src0_sel:DWORD src1_sel:WORD_1
	v_pk_mul_f16 v43, v10, v30
	v_mul_f16_sdwa v44, v10, v30 dst_sel:DWORD dst_unused:UNUSED_PAD src0_sel:DWORD src1_sel:WORD_1
	v_lshrrev_b32_e32 v10, 16, v10
	v_perm_b32 v47, v11, v13, s9
	v_perm_b32 v49, v12, v20, s9
	;; [unrolled: 1-line block ×3, first 2 shown]
	v_mul_f16_sdwa v55, v35, v23 dst_sel:DWORD dst_unused:UNUSED_PAD src0_sel:DWORD src1_sel:WORD_1
	v_mul_f16_sdwa v56, v27, v23 dst_sel:DWORD dst_unused:UNUSED_PAD src0_sel:DWORD src1_sel:WORD_1
	v_fma_f16 v11, v11, v19, v45
	v_fma_f16 v9, v13, v9, v46
	v_pk_mul_f16 v13, v48, v36
	v_fma_f16 v19, v20, v39, -v24
	v_fma_f16 v20, v25, v21, v51
	v_mul_f16_sdwa v52, v25, v21 dst_sel:DWORD dst_unused:UNUSED_PAD src0_sel:DWORD src1_sel:WORD_1
	v_mul_f16_sdwa v53, v34, v22 dst_sel:DWORD dst_unused:UNUSED_PAD src0_sel:DWORD src1_sel:WORD_1
	;; [unrolled: 1-line block ×3, first 2 shown]
	s_waitcnt vmcnt(0)
	v_mul_f16_sdwa v57, v42, v17 dst_sel:DWORD dst_unused:UNUSED_PAD src0_sel:DWORD src1_sel:WORD_1
	v_fma_f16 v10, -v10, v30, v44
	v_fma_f16 v25, v27, v23, v55
	v_fma_f16 v23, v35, v23, -v56
	v_pk_fma_f16 v13, v47, v37, v13 neg_lo:[0,0,1] neg_hi:[0,0,1]
	v_add_f16_e32 v30, v9, v20
	v_mul_f16_sdwa v58, v31, v17 dst_sel:DWORD dst_unused:UNUSED_PAD src0_sel:DWORD src1_sel:WORD_1
	v_fma_f16 v21, v33, v21, -v52
	v_fma_f16 v24, v26, v22, v53
	v_fma_f16 v22, v34, v22, -v54
	v_fma_f16 v26, v31, v17, v57
	v_sub_f16_e32 v31, v11, v9
	v_sub_f16_e32 v33, v25, v20
	v_fma_f16 v30, v30, -0.5, v18
	v_sub_f16_sdwa v34, v13, v23 dst_sel:DWORD dst_unused:UNUSED_PAD src0_sel:WORD_1 src1_sel:DWORD
	v_sub_f16_e32 v35, v13, v21
	v_add_f16_e32 v31, v31, v33
	v_fma_f16 v33, v34, s17, v30
	v_fma_f16 v30, v34, s20, v30
	;; [unrolled: 1-line block ×6, first 2 shown]
	v_add_f16_e32 v31, v11, v25
	v_add_f16_e32 v27, v18, v11
	v_fma_f16 v18, v31, -0.5, v18
	v_add_f16_e32 v27, v27, v9
	v_fma_f16 v31, v35, s20, v18
	v_fma_f16 v18, v35, s17, v18
	v_add_f16_e32 v35, v13, v21
	v_add_f16_e32 v27, v27, v20
	v_sub_f16_e32 v36, v9, v11
	v_sub_f16_e32 v37, v20, v25
	v_fma_f16 v35, v35, -0.5, v32
	v_sub_f16_e32 v11, v11, v25
	v_add_f16_e32 v27, v27, v25
	v_fma_f16 v31, v34, s18, v31
	v_add_f16_e32 v36, v36, v37
	v_fma_f16 v18, v34, s21, v18
	v_fma_f16 v25, v11, s20, v35
	v_sub_f16_e32 v9, v9, v20
	v_fma_f16 v31, v36, s19, v31
	v_fma_f16 v18, v36, s19, v18
	;; [unrolled: 1-line block ×3, first 2 shown]
	v_sub_f16_sdwa v25, v13, v13 dst_sel:DWORD dst_unused:UNUSED_PAD src0_sel:WORD_1 src1_sel:DWORD
	v_sub_f16_e32 v36, v23, v21
	v_fma_f16 v35, v11, s17, v35
	v_add_f16_e32 v25, v25, v36
	v_fma_f16 v35, v9, s18, v35
	v_add_f16_sdwa v34, v32, v13 dst_sel:DWORD dst_unused:UNUSED_PAD src0_sel:DWORD src1_sel:WORD_1
	v_fma_f16 v20, v25, s19, v20
	v_fma_f16 v25, v25, s19, v35
	v_add_f16_sdwa v35, v13, v23 dst_sel:DWORD dst_unused:UNUSED_PAD src0_sel:WORD_1 src1_sel:DWORD
	v_mul_f16_sdwa v8, v12, v8 dst_sel:DWORD dst_unused:UNUSED_PAD src0_sel:WORD_1 src1_sel:DWORD
	v_add_f16_e32 v34, v34, v13
	v_fma_f16 v32, v35, -0.5, v32
	v_fma_f16 v8, v12, v38, -v8
	v_pk_mul_f16 v12, v50, v40
	v_add_f16_e32 v34, v34, v21
	v_fma_f16 v35, v9, s17, v32
	v_sub_f16_sdwa v13, v13, v13 dst_sel:DWORD dst_unused:UNUSED_PAD src0_sel:DWORD src1_sel:WORD_1
	v_sub_f16_e32 v21, v21, v23
	v_fma_f16 v9, v9, s20, v32
	v_pk_fma_f16 v12, v49, v41, v12
	v_fma_f16 v35, v11, s21, v35
	v_add_f16_e32 v13, v13, v21
	v_fma_f16 v9, v11, s18, v9
	v_add_f16_sdwa v43, v43, v43 dst_sel:DWORD dst_unused:UNUSED_PAD src0_sel:DWORD src1_sel:WORD_1
	v_fma_f16 v17, v42, v17, -v58
	v_fma_f16 v21, v13, s19, v35
	v_fma_f16 v9, v13, s19, v9
	v_add_f16_e32 v13, v12, v24
	v_add_f16_e32 v34, v34, v23
	v_fma_f16 v13, v13, -0.5, v43
	v_sub_f16_e32 v23, v8, v17
	v_fma_f16 v32, v23, s17, v13
	v_sub_f16_e32 v35, v19, v22
	v_sub_f16_sdwa v36, v12, v12 dst_sel:DWORD dst_unused:UNUSED_PAD src0_sel:WORD_1 src1_sel:DWORD
	v_sub_f16_e32 v37, v26, v24
	v_fma_f16 v13, v23, s20, v13
	v_fma_f16 v32, v35, s18, v32
	v_add_f16_e32 v36, v36, v37
	v_fma_f16 v13, v35, s21, v13
	v_add_f16_sdwa v11, v43, v12 dst_sel:DWORD dst_unused:UNUSED_PAD src0_sel:DWORD src1_sel:WORD_1
	v_fma_f16 v32, v36, s19, v32
	v_fma_f16 v13, v36, s19, v13
	v_add_f16_sdwa v36, v12, v26 dst_sel:DWORD dst_unused:UNUSED_PAD src0_sel:WORD_1 src1_sel:DWORD
	v_add_f16_e32 v11, v11, v12
	v_fma_f16 v36, v36, -0.5, v43
	v_add_f16_e32 v11, v11, v24
	v_fma_f16 v37, v35, s20, v36
	v_sub_f16_sdwa v38, v12, v12 dst_sel:DWORD dst_unused:UNUSED_PAD src0_sel:DWORD src1_sel:WORD_1
	v_sub_f16_e32 v39, v24, v26
	v_fma_f16 v35, v35, s17, v36
	v_add_f16_e32 v36, v19, v22
	v_add_f16_e32 v11, v11, v26
	v_fma_f16 v37, v23, s18, v37
	v_add_f16_e32 v38, v38, v39
	v_fma_f16 v23, v23, s21, v35
	v_fma_f16 v36, v36, -0.5, v10
	v_sub_f16_sdwa v26, v12, v26 dst_sel:DWORD dst_unused:UNUSED_PAD src0_sel:WORD_1 src1_sel:DWORD
	v_fma_f16 v37, v38, s19, v37
	v_fma_f16 v23, v38, s19, v23
	;; [unrolled: 1-line block ×3, first 2 shown]
	v_sub_f16_e32 v12, v12, v24
	v_fma_f16 v24, v12, s21, v38
	v_sub_f16_e32 v38, v8, v19
	v_sub_f16_e32 v39, v17, v22
	v_fma_f16 v36, v26, s17, v36
	v_add_f16_e32 v35, v10, v8
	v_add_f16_e32 v38, v38, v39
	v_fma_f16 v36, v12, s18, v36
	v_add_f16_e32 v35, v35, v19
	v_fma_f16 v24, v38, s19, v24
	v_fma_f16 v36, v38, s19, v36
	v_add_f16_e32 v38, v8, v17
	v_add_f16_e32 v35, v35, v22
	v_fma_f16 v10, v38, -0.5, v10
	v_add_f16_e32 v35, v35, v17
	v_fma_f16 v38, v12, s17, v10
	v_sub_f16_e32 v8, v19, v8
	v_sub_f16_e32 v17, v22, v17
	v_fma_f16 v10, v12, s20, v10
	v_fma_f16 v38, v26, s21, v38
	v_add_f16_e32 v8, v8, v17
	v_fma_f16 v10, v26, s18, v10
	v_fma_f16 v17, v8, s19, v38
	;; [unrolled: 1-line block ×3, first 2 shown]
	v_mul_f16_e32 v12, 0xb8b4, v24
	v_fma_f16 v12, v32, s8, v12
	v_mul_f16_e32 v19, 0xbb9c, v17
	v_mul_f16_e32 v38, 0xbb9c, v8
	s_mov_b32 s8, 0xb4f2
	v_mul_f16_e32 v17, 0x34f2, v17
	v_mul_f16_e32 v8, 0xb4f2, v8
	v_fma_f16 v19, v37, s19, v19
	v_fma_f16 v38, v23, s8, v38
	v_mul_f16_e32 v40, 0xb8b4, v36
	s_mov_b32 s8, 0xba79
	v_fma_f16 v37, v37, s20, v17
	v_fma_f16 v8, v23, s20, v8
	v_mul_f16_e32 v17, 0xba79, v36
	v_add_f16_e32 v39, v18, v38
	v_fma_f16 v40, v13, s8, v40
	v_add_f16_e32 v23, v9, v8
	v_fma_f16 v13, v13, s21, v17
	v_sub_f16_e32 v17, v18, v38
	v_sub_f16_e32 v18, v9, v8
	v_lshrrev_b32_e32 v8, 2, v14
	v_mul_f16_e32 v24, 0x3a79, v24
	v_mul_u32_u24_e32 v8, 40, v8
	v_fma_f16 v24, v32, s21, v24
	v_or_b32_e32 v8, v8, v28
	v_add_f16_e32 v10, v27, v11
	v_add_f16_e32 v22, v33, v12
	;; [unrolled: 1-line block ×4, first 2 shown]
	v_mul_u32_u24_e32 v8, 48, v8
	v_add_f16_e32 v26, v31, v19
	v_add_f16_e32 v43, v21, v37
	v_add3_u32 v2, 0, v8, v2
	v_pack_b32_f16 v8, v10, v42
	v_pack_b32_f16 v9, v22, v32
	v_add_f16_e32 v41, v30, v40
	v_add_f16_e32 v36, v25, v13
	v_sub_f16_e32 v11, v27, v11
	v_sub_f16_e32 v27, v31, v19
	;; [unrolled: 1-line block ×4, first 2 shown]
	ds_write2_b32 v2, v8, v9 offset1:48
	v_pack_b32_f16 v8, v26, v43
	v_pack_b32_f16 v9, v39, v23
	v_sub_f16_e32 v12, v33, v12
	v_sub_f16_e32 v24, v20, v24
	;; [unrolled: 1-line block ×3, first 2 shown]
	ds_write2_b32 v2, v8, v9 offset0:96 offset1:144
	v_pack_b32_f16 v8, v41, v36
	v_pack_b32_f16 v9, v11, v30
	v_sub_f16_e32 v20, v25, v13
	ds_write2_b32 v2, v8, v9 offset0:192 offset1:240
	v_pack_b32_f16 v8, v12, v24
	v_pack_b32_f16 v9, v27, v21
	v_add_u32_e32 v2, 0x400, v2
	ds_write2_b32 v2, v8, v9 offset0:32 offset1:80
	v_pack_b32_f16 v8, v17, v18
	v_pack_b32_f16 v9, v19, v20
	ds_write2_b32 v2, v8, v9 offset0:128 offset1:176
	v_add_u32_e32 v2, 0x80, v0
	s_waitcnt lgkmcnt(0)
	s_barrier
	ds_read2st64_b32 v[10:11], v2 offset0:7 offset1:10
	ds_read2st64_b32 v[12:13], v0 offset0:15 offset1:18
	;; [unrolled: 1-line block ×3, first 2 shown]
	ds_read_b32 v25, v0
	ds_read_b32 v24, v29
	v_lshrrev_b32_e32 v21, 16, v1
	s_and_saveexec_b64 s[8:9], s[2:3]
	s_cbranch_execz .LBB0_28
; %bb.27:
	v_add_u32_e32 v1, 0x600, v0
	ds_read_b32 v17, v1
	ds_read_b32 v3, v0 offset:7296
	ds_read_b32 v19, v0 offset:3456
	;; [unrolled: 1-line block ×3, first 2 shown]
	s_waitcnt lgkmcnt(3)
	v_lshrrev_b32_e32 v18, 16, v17
	s_waitcnt lgkmcnt(2)
	v_lshrrev_b32_e32 v21, 16, v3
	;; [unrolled: 2-line block ×3, first 2 shown]
.LBB0_28:
	s_or_b64 exec, exec, s[8:9]
	v_mul_u32_u24_e32 v0, 3, v14
	v_lshlrev_b32_e32 v0, 2, v0
	s_movk_i32 s8, 0xcd
	global_load_dwordx3 v[26:28], v0, s[26:27] offset:144
	v_mul_lo_u16_sdwa v0, v16, s8 dst_sel:DWORD dst_unused:UNUSED_PAD src0_sel:BYTE_0 src1_sel:DWORD
	v_lshrrev_b16_e32 v23, 13, v0
	v_mul_lo_u16_e32 v0, 40, v23
	v_sub_u16_e32 v0, v16, v0
	v_and_b32_e32 v33, 0xff, v0
	v_mul_u32_u24_e32 v0, 3, v33
	v_lshlrev_b32_e32 v0, 2, v0
	global_load_dwordx3 v[30:32], v0, s[26:27] offset:144
	v_or_b32_e32 v22, 32, v14
	s_waitcnt lgkmcnt(2)
	v_lshrrev_b32_e32 v38, 16, v8
	v_lshrrev_b32_e32 v39, 16, v12
	;; [unrolled: 1-line block ×3, first 2 shown]
	v_mul_lo_u32 v0, v6, v14
	v_mov_b32_e32 v41, 2
	v_mul_lo_u16_e32 v2, 13, v22
	v_lshlrev_b32_sdwa v42, v41, v0 dst_sel:DWORD dst_unused:UNUSED_PAD src0_sel:DWORD src1_sel:BYTE_0
	v_lshlrev_b32_sdwa v43, v41, v0 dst_sel:DWORD dst_unused:UNUSED_PAD src0_sel:DWORD src1_sel:BYTE_1
	v_lshrrev_b16_e32 v0, 9, v2
	v_mul_lo_u16_e32 v0, 40, v0
	s_waitcnt lgkmcnt(1)
	v_lshrrev_b32_e32 v29, 16, v25
	v_sub_u16_e32 v0, v22, v0
	v_and_b32_e32 v46, 0xff, v0
	v_lshrrev_b32_e32 v36, 16, v13
	v_lshrrev_b32_e32 v37, 16, v11
	v_mul_u32_u24_e32 v0, 3, v46
	v_mul_lo_u32 v1, v6, v15
	v_lshlrev_b32_e32 v0, 2, v0
	v_lshlrev_b32_sdwa v44, v41, v1 dst_sel:DWORD dst_unused:UNUSED_PAD src0_sel:DWORD src1_sel:BYTE_0
	v_lshlrev_b32_sdwa v45, v41, v1 dst_sel:DWORD dst_unused:UNUSED_PAD src0_sel:DWORD src1_sel:BYTE_1
	global_load_dwordx3 v[0:2], v0, s[26:27] offset:144
	v_lshrrev_b32_e32 v35, 16, v9
	s_waitcnt lgkmcnt(0)
	v_lshrrev_b32_e32 v34, 16, v24
	s_mul_i32 s8, s15, s28
	s_mul_hi_u32 s9, s14, s28
	s_mul_i32 s14, s14, s28
	s_add_i32 s9, s9, s8
	s_add_u32 s8, s14, s50
	s_addc_u32 s9, s9, s33
	s_andn2_b64 vcc, exec, s[0:1]
	s_waitcnt vmcnt(2)
	v_mul_f16_sdwa v47, v26, v40 dst_sel:DWORD dst_unused:UNUSED_PAD src0_sel:WORD_1 src1_sel:DWORD
	v_mul_f16_sdwa v49, v27, v39 dst_sel:DWORD dst_unused:UNUSED_PAD src0_sel:WORD_1 src1_sel:DWORD
	;; [unrolled: 1-line block ×6, first 2 shown]
	v_fma_f16 v10, v26, v10, v47
	v_fma_f16 v12, v27, v12, v49
	;; [unrolled: 1-line block ×3, first 2 shown]
	v_fma_f16 v26, v26, v40, -v48
	v_fma_f16 v27, v27, v39, -v50
	;; [unrolled: 1-line block ×3, first 2 shown]
	v_sub_f16_e32 v12, v25, v12
	v_sub_f16_e32 v8, v10, v8
	;; [unrolled: 1-line block ×4, first 2 shown]
	v_fma_f16 v25, v25, 2.0, -v12
	v_fma_f16 v10, v10, 2.0, -v8
	;; [unrolled: 1-line block ×4, first 2 shown]
	v_add_f16_e32 v47, v12, v28
	v_sub_f16_e32 v40, v25, v10
	v_sub_f16_e32 v48, v29, v26
	v_fma_f16 v39, v12, 2.0, -v47
	v_fma_f16 v38, v25, 2.0, -v40
	s_waitcnt vmcnt(1)
	v_mul_f16_sdwa v10, v30, v37 dst_sel:DWORD dst_unused:UNUSED_PAD src0_sel:WORD_1 src1_sel:DWORD
	v_mul_f16_sdwa v12, v30, v11 dst_sel:DWORD dst_unused:UNUSED_PAD src0_sel:WORD_1 src1_sel:DWORD
	;; [unrolled: 1-line block ×4, first 2 shown]
	v_fma_f16 v10, v30, v11, v10
	v_fma_f16 v11, v30, v37, -v12
	v_fma_f16 v12, v31, v13, v25
	v_fma_f16 v13, v31, v36, -v26
	global_load_dword v30, v42, s[12:13]
	global_load_dword v31, v43, s[12:13] offset:1024
	v_sub_f16_e32 v8, v27, v8
	v_mul_f16_sdwa v28, v32, v9 dst_sel:DWORD dst_unused:UNUSED_PAD src0_sel:WORD_1 src1_sel:DWORD
	global_load_dword v36, v44, s[12:13]
	global_load_dword v37, v45, s[12:13] offset:1024
	v_fma_f16 v49, v27, 2.0, -v8
	v_mul_f16_sdwa v27, v32, v35 dst_sel:DWORD dst_unused:UNUSED_PAD src0_sel:WORD_1 src1_sel:DWORD
	v_fma_f16 v25, v32, v35, -v28
	v_add_u32_e32 v28, 0x50, v14
	v_fma_f16 v9, v32, v9, v27
	v_sub_f16_e32 v32, v24, v12
	v_sub_f16_e32 v12, v11, v25
	v_mul_lo_u32 v25, v6, v28
	v_sub_f16_e32 v35, v34, v13
	v_lshlrev_b32_sdwa v26, v41, v25 dst_sel:DWORD dst_unused:UNUSED_PAD src0_sel:DWORD src1_sel:BYTE_0
	v_sub_f16_e32 v9, v10, v9
	v_fma_f16 v13, v24, 2.0, -v32
	v_fma_f16 v24, v34, 2.0, -v35
	v_lshlrev_b32_sdwa v25, v41, v25 dst_sel:DWORD dst_unused:UNUSED_PAD src0_sel:DWORD src1_sel:BYTE_1
	global_load_dword v34, v26, s[12:13]
	global_load_dword v42, v25, s[12:13] offset:1024
	v_fma_f16 v50, v29, 2.0, -v48
	v_fma_f16 v10, v10, 2.0, -v9
	v_add_u32_e32 v29, 0x78, v14
	v_fma_f16 v11, v11, 2.0, -v12
	v_sub_f16_e32 v44, v13, v10
	v_mul_lo_u32 v10, v6, v29
	v_sub_f16_e32 v45, v24, v11
	v_lshlrev_b32_sdwa v11, v41, v10 dst_sel:DWORD dst_unused:UNUSED_PAD src0_sel:DWORD src1_sel:BYTE_0
	v_lshlrev_b32_sdwa v10, v41, v10 dst_sel:DWORD dst_unused:UNUSED_PAD src0_sel:DWORD src1_sel:BYTE_1
	global_load_dword v52, v11, s[12:13]
	global_load_dword v53, v10, s[12:13] offset:1024
	v_mul_lo_u32 v10, v6, v33
	v_lshlrev_b32_sdwa v11, v41, v10 dst_sel:DWORD dst_unused:UNUSED_PAD src0_sel:DWORD src1_sel:BYTE_0
	v_lshlrev_b32_sdwa v10, v41, v10 dst_sel:DWORD dst_unused:UNUSED_PAD src0_sel:DWORD src1_sel:BYTE_1
	global_load_dword v55, v11, s[12:13]
	global_load_dword v56, v10, s[12:13] offset:1024
	v_add_f16_e32 v54, v32, v12
	v_add_u32_e32 v12, 40, v33
	v_mul_lo_u32 v12, v6, v12
	v_fma_f16 v43, v13, 2.0, -v44
	v_fma_f16 v51, v24, 2.0, -v45
	v_lshlrev_b32_sdwa v13, v41, v12 dst_sel:DWORD dst_unused:UNUSED_PAD src0_sel:DWORD src1_sel:BYTE_0
	v_add_u32_e32 v11, 0x50, v33
	v_add_u32_e32 v24, 0x78, v33
	v_lshlrev_b32_sdwa v10, v41, v12 dst_sel:DWORD dst_unused:UNUSED_PAD src0_sel:DWORD src1_sel:BYTE_1
	v_mul_lo_u32 v11, v6, v11
	v_mul_lo_u32 v24, v6, v24
	global_load_dword v57, v13, s[12:13]
	global_load_dword v58, v10, s[12:13] offset:1024
	v_lshlrev_b32_sdwa v12, v41, v11 dst_sel:DWORD dst_unused:UNUSED_PAD src0_sel:DWORD src1_sel:BYTE_0
	v_lshlrev_b32_sdwa v10, v41, v24 dst_sel:DWORD dst_unused:UNUSED_PAD src0_sel:DWORD src1_sel:BYTE_0
	v_lshlrev_b32_sdwa v11, v41, v11 dst_sel:DWORD dst_unused:UNUSED_PAD src0_sel:DWORD src1_sel:BYTE_1
	v_lshlrev_b32_sdwa v13, v41, v24 dst_sel:DWORD dst_unused:UNUSED_PAD src0_sel:DWORD src1_sel:BYTE_1
	global_load_dword v59, v12, s[12:13]
	global_load_dword v60, v11, s[12:13] offset:1024
	global_load_dword v61, v10, s[12:13]
	global_load_dword v62, v13, s[12:13] offset:1024
	v_mul_lo_u32 v10, v6, v46
	v_lshlrev_b32_sdwa v33, v41, v10 dst_sel:DWORD dst_unused:UNUSED_PAD src0_sel:DWORD src1_sel:BYTE_0
	v_lshlrev_b32_sdwa v63, v41, v10 dst_sel:DWORD dst_unused:UNUSED_PAD src0_sel:DWORD src1_sel:BYTE_1
	v_add_u32_e32 v10, 40, v46
	v_mul_lo_u32 v10, v6, v10
	v_lshlrev_b32_sdwa v64, v41, v10 dst_sel:DWORD dst_unused:UNUSED_PAD src0_sel:DWORD src1_sel:BYTE_0
	v_lshlrev_b32_sdwa v65, v41, v10 dst_sel:DWORD dst_unused:UNUSED_PAD src0_sel:DWORD src1_sel:BYTE_1
	v_add_u32_e32 v10, 0x50, v46
	;; [unrolled: 4-line block ×3, first 2 shown]
	v_mul_lo_u32 v10, v6, v10
	v_lshlrev_b32_sdwa v46, v41, v10 dst_sel:DWORD dst_unused:UNUSED_PAD src0_sel:DWORD src1_sel:BYTE_0
	v_lshlrev_b32_sdwa v41, v41, v10 dst_sel:DWORD dst_unused:UNUSED_PAD src0_sel:DWORD src1_sel:BYTE_1
	global_load_dword v26, v33, s[12:13]
	global_load_dword v27, v63, s[12:13] offset:1024
	global_load_dword v24, v64, s[12:13]
	global_load_dword v25, v65, s[12:13] offset:1024
	;; [unrolled: 2-line block ×4, first 2 shown]
	v_fma_f16 v46, v32, 2.0, -v54
	v_sub_f16_e32 v9, v35, v9
	v_fma_f16 v63, v35, 2.0, -v9
	s_movk_i32 s12, 0x78
	s_waitcnt vmcnt(23)
	v_lshrrev_b32_e32 v32, 16, v30
	s_waitcnt vmcnt(22)
	v_mul_f16_sdwa v33, v32, v31 dst_sel:DWORD dst_unused:UNUSED_PAD src0_sel:DWORD src1_sel:WORD_1
	v_fma_f16 v33, v30, v31, -v33
	v_mul_f16_sdwa v30, v30, v31 dst_sel:DWORD dst_unused:UNUSED_PAD src0_sel:DWORD src1_sel:WORD_1
	v_fma_f16 v31, v32, v31, v30
	v_mul_f16_e32 v30, v50, v31
	v_mul_f16_e32 v31, v38, v31
	v_fma_f16 v30, v38, v33, v30
	v_fma_f16 v38, v50, v33, -v31
	s_waitcnt vmcnt(21)
	v_lshrrev_b32_e32 v31, 16, v36
	s_waitcnt vmcnt(20)
	v_mul_f16_sdwa v33, v36, v37 dst_sel:DWORD dst_unused:UNUSED_PAD src0_sel:DWORD src1_sel:WORD_1
	v_mul_f16_sdwa v32, v31, v37 dst_sel:DWORD dst_unused:UNUSED_PAD src0_sel:DWORD src1_sel:WORD_1
	v_fma_f16 v33, v31, v37, v33
	v_fma_f16 v32, v36, v37, -v32
	v_mul_f16_e32 v31, v49, v33
	v_mul_f16_e32 v33, v39, v33
	v_fma_f16 v31, v39, v32, v31
	v_fma_f16 v39, v49, v32, -v33
	s_waitcnt vmcnt(19)
	v_lshrrev_b32_e32 v32, 16, v34
	s_waitcnt vmcnt(18)
	v_mul_f16_sdwa v33, v32, v42 dst_sel:DWORD dst_unused:UNUSED_PAD src0_sel:DWORD src1_sel:WORD_1
	v_fma_f16 v33, v34, v42, -v33
	v_mul_f16_sdwa v34, v34, v42 dst_sel:DWORD dst_unused:UNUSED_PAD src0_sel:DWORD src1_sel:WORD_1
	v_fma_f16 v34, v32, v42, v34
	v_mul_f16_e32 v32, v48, v34
	v_mul_f16_e32 v34, v40, v34
	v_fma_f16 v32, v40, v33, v32
	v_fma_f16 v40, v48, v33, -v34
	s_waitcnt vmcnt(17)
	v_lshrrev_b32_e32 v33, 16, v52
	s_waitcnt vmcnt(16)
	v_mul_f16_sdwa v35, v52, v53 dst_sel:DWORD dst_unused:UNUSED_PAD src0_sel:DWORD src1_sel:WORD_1
	v_mul_f16_sdwa v34, v33, v53 dst_sel:DWORD dst_unused:UNUSED_PAD src0_sel:DWORD src1_sel:WORD_1
	v_fma_f16 v35, v33, v53, v35
	v_fma_f16 v34, v52, v53, -v34
	v_mul_f16_e32 v33, v8, v35
	v_mul_f16_e32 v35, v47, v35
	v_fma_f16 v41, v8, v34, -v35
	s_waitcnt vmcnt(15)
	v_lshrrev_b32_e32 v8, 16, v55
	v_fma_f16 v33, v47, v34, v33
	s_waitcnt vmcnt(14)
	v_mul_f16_sdwa v34, v8, v56 dst_sel:DWORD dst_unused:UNUSED_PAD src0_sel:DWORD src1_sel:WORD_1
	v_fma_f16 v35, v55, v56, -v34
	v_mul_f16_sdwa v34, v55, v56 dst_sel:DWORD dst_unused:UNUSED_PAD src0_sel:DWORD src1_sel:WORD_1
	v_fma_f16 v8, v8, v56, v34
	v_mul_f16_e32 v34, v51, v8
	v_mul_f16_e32 v8, v43, v8
	v_fma_f16 v42, v51, v35, -v8
	s_waitcnt vmcnt(13)
	v_lshrrev_b32_e32 v8, 16, v57
	v_fma_f16 v34, v43, v35, v34
	s_waitcnt vmcnt(12)
	v_mul_f16_sdwa v35, v8, v58 dst_sel:DWORD dst_unused:UNUSED_PAD src0_sel:DWORD src1_sel:WORD_1
	v_fma_f16 v36, v57, v58, -v35
	v_mul_f16_sdwa v35, v57, v58 dst_sel:DWORD dst_unused:UNUSED_PAD src0_sel:DWORD src1_sel:WORD_1
	v_fma_f16 v8, v8, v58, v35
	;; [unrolled: 11-line block ×3, first 2 shown]
	v_mul_f16_e32 v36, v45, v8
	v_mul_f16_e32 v8, v44, v8
	v_fma_f16 v36, v44, v37, v36
	v_fma_f16 v44, v45, v37, -v8
	s_waitcnt vmcnt(9)
	v_lshrrev_b32_e32 v8, 16, v61
	s_waitcnt vmcnt(8)
	v_mul_f16_sdwa v37, v8, v62 dst_sel:DWORD dst_unused:UNUSED_PAD src0_sel:DWORD src1_sel:WORD_1
	v_fma_f16 v45, v61, v62, -v37
	v_mul_f16_sdwa v37, v61, v62 dst_sel:DWORD dst_unused:UNUSED_PAD src0_sel:DWORD src1_sel:WORD_1
	v_fma_f16 v8, v8, v62, v37
	v_mul_f16_e32 v37, v9, v8
	v_mul_f16_e32 v8, v54, v8
	v_fma_f16 v37, v54, v45, v37
	v_fma_f16 v45, v9, v45, -v8
	s_cbranch_vccnz .LBB0_30
; %bb.29:
	v_mad_u64_u32 v[8:9], s[0:1], s6, v4, 0
	v_mov_b32_e32 v46, v9
	v_mad_u64_u32 v[46:47], s[0:1], s7, v4, v[46:47]
	v_mov_b32_e32 v9, v46
	;; [unrolled: 2-line block ×3, first 2 shown]
	v_mad_u64_u32 v[48:49], s[0:1], s5, v14, v[48:49]
	s_lshl_b64 s[0:1], s[8:9], 2
	s_add_u32 s0, s10, s0
	s_addc_u32 s1, s11, s1
	v_mov_b32_e32 v47, v48
	v_lshl_add_u64 v[8:9], v[8:9], 2, s[0:1]
	s_mov_b32 s13, 0x5040100
	v_lshl_add_u64 v[46:47], v[46:47], 2, v[8:9]
	v_perm_b32 v48, v38, v30, s13
	global_store_dword v[46:47], v48, off
	v_mad_u64_u32 v[46:47], s[0:1], s4, v15, 0
	v_mov_b32_e32 v48, v47
	v_mad_u64_u32 v[48:49], s[0:1], s5, v15, v[48:49]
	v_mov_b32_e32 v47, v48
	v_lshl_add_u64 v[46:47], v[46:47], 2, v[8:9]
	v_perm_b32 v48, v39, v31, s13
	global_store_dword v[46:47], v48, off
	v_mad_u64_u32 v[46:47], s[0:1], s4, v28, 0
	v_mov_b32_e32 v48, v47
	v_mad_u64_u32 v[48:49], s[0:1], s5, v28, v[48:49]
	v_mov_b32_e32 v47, v48
	;; [unrolled: 7-line block ×3, first 2 shown]
	v_lshl_add_u64 v[28:29], v[46:47], 2, v[8:9]
	v_perm_b32 v46, v41, v33, s13
	v_mad_u32_u24 v48, v23, s12, v16
	global_store_dword v[28:29], v46, off
	v_mad_u64_u32 v[28:29], s[0:1], s4, v48, 0
	v_mov_b32_e32 v46, v29
	v_mad_u64_u32 v[46:47], s[0:1], s5, v48, v[46:47]
	v_mov_b32_e32 v29, v46
	v_lshl_add_u64 v[28:29], v[28:29], 2, v[8:9]
	v_perm_b32 v46, v42, v34, s13
	v_add_u32_e32 v47, 40, v48
	global_store_dword v[28:29], v46, off
	v_mad_u64_u32 v[28:29], s[0:1], s4, v47, 0
	v_mov_b32_e32 v46, v29
	v_mad_u64_u32 v[46:47], s[0:1], s5, v47, v[46:47]
	v_mov_b32_e32 v29, v46
	v_lshl_add_u64 v[28:29], v[28:29], 2, v[8:9]
	v_perm_b32 v46, v43, v35, s13
	v_add_u32_e32 v47, 0x50, v48
	;; [unrolled: 8-line block ×3, first 2 shown]
	global_store_dword v[28:29], v46, off
	v_mad_u64_u32 v[28:29], s[0:1], s4, v47, 0
	v_mov_b32_e32 v46, v29
	v_mad_u64_u32 v[46:47], s[0:1], s5, v47, v[46:47]
	v_mov_b32_e32 v29, v46
	v_lshl_add_u64 v[28:29], v[28:29], 2, v[8:9]
	v_perm_b32 v46, v45, v37, s13
	s_and_b64 s[0:1], s[2:3], exec
	global_store_dword v[28:29], v46, off
	s_cbranch_execz .LBB0_31
	s_branch .LBB0_34
.LBB0_30:
	s_mov_b64 s[0:1], 0
                                        ; implicit-def: $vgpr8_vgpr9
.LBB0_31:
	v_cmp_gt_u64_e32 vcc, s[24:25], v[6:7]
                                        ; implicit-def: $vgpr8_vgpr9
	s_and_saveexec_b64 s[12:13], vcc
	s_cbranch_execz .LBB0_33
; %bb.32:
	v_mad_u64_u32 v[6:7], s[14:15], s6, v4, 0
	v_mov_b32_e32 v8, v7
	v_mad_u64_u32 v[8:9], s[6:7], s7, v4, v[8:9]
	v_mad_u64_u32 v[28:29], s[6:7], s4, v14, 0
	v_mov_b32_e32 v4, v29
	v_mov_b32_e32 v7, v8
	v_mad_u64_u32 v[8:9], s[6:7], s5, v14, v[4:5]
	s_lshl_b64 s[6:7], s[8:9], 2
	s_add_u32 s6, s10, s6
	s_addc_u32 s7, s11, s7
	v_mov_b32_e32 v29, v8
	v_lshl_add_u64 v[8:9], v[6:7], 2, s[6:7]
	s_mov_b32 s8, 0x5040100
	v_lshl_add_u64 v[6:7], v[28:29], 2, v[8:9]
	v_perm_b32 v4, v38, v30, s8
	global_store_dword v[6:7], v4, off
	v_mad_u64_u32 v[6:7], s[6:7], s4, v15, 0
	v_mov_b32_e32 v4, v7
	v_mad_u64_u32 v[28:29], s[6:7], s5, v15, v[4:5]
	v_mov_b32_e32 v7, v28
	v_lshl_add_u64 v[6:7], v[6:7], 2, v[8:9]
	v_perm_b32 v4, v39, v31, s8
	v_add_u32_e32 v15, 0x50, v14
	global_store_dword v[6:7], v4, off
	v_mad_u64_u32 v[6:7], s[6:7], s4, v15, 0
	v_mov_b32_e32 v4, v7
	v_mad_u64_u32 v[28:29], s[6:7], s5, v15, v[4:5]
	v_mov_b32_e32 v7, v28
	v_lshl_add_u64 v[6:7], v[6:7], 2, v[8:9]
	v_perm_b32 v4, v40, v32, s8
	v_add_u32_e32 v15, 0x78, v14
	global_store_dword v[6:7], v4, off
	v_mad_u64_u32 v[6:7], s[6:7], s4, v15, 0
	v_mov_b32_e32 v4, v7
	v_mad_u64_u32 v[28:29], s[6:7], s5, v15, v[4:5]
	s_movk_i32 s9, 0x78
	v_mov_b32_e32 v7, v28
	v_lshl_add_u64 v[6:7], v[6:7], 2, v[8:9]
	v_perm_b32 v4, v41, v33, s8
	v_mad_u32_u24 v15, v23, s9, v16
	global_store_dword v[6:7], v4, off
	v_mad_u64_u32 v[6:7], s[6:7], s4, v15, 0
	v_mov_b32_e32 v4, v7
	v_mad_u64_u32 v[28:29], s[6:7], s5, v15, v[4:5]
	v_mov_b32_e32 v7, v28
	v_lshl_add_u64 v[6:7], v[6:7], 2, v[8:9]
	v_perm_b32 v4, v42, v34, s8
	v_add_u32_e32 v16, 40, v15
	global_store_dword v[6:7], v4, off
	v_mad_u64_u32 v[6:7], s[6:7], s4, v16, 0
	v_mov_b32_e32 v4, v7
	v_mad_u64_u32 v[28:29], s[6:7], s5, v16, v[4:5]
	v_mov_b32_e32 v7, v28
	v_lshl_add_u64 v[6:7], v[6:7], 2, v[8:9]
	v_perm_b32 v4, v43, v35, s8
	v_add_u32_e32 v16, 0x50, v15
	;; [unrolled: 8-line block ×3, first 2 shown]
	global_store_dword v[6:7], v4, off
	v_mad_u64_u32 v[6:7], s[6:7], s4, v15, 0
	v_mov_b32_e32 v4, v7
	v_mad_u64_u32 v[28:29], s[6:7], s5, v15, v[4:5]
	v_mov_b32_e32 v7, v28
	s_andn2_b64 s[0:1], s[0:1], exec
	s_and_b64 s[2:3], s[2:3], exec
	v_lshl_add_u64 v[6:7], v[6:7], 2, v[8:9]
	v_perm_b32 v4, v45, v37, s8
	s_or_b64 s[0:1], s[0:1], s[2:3]
	global_store_dword v[6:7], v4, off
.LBB0_33:
	s_or_b64 exec, exec, s[12:13]
.LBB0_34:
	s_and_saveexec_b64 s[2:3], s[0:1]
	s_cbranch_execnz .LBB0_36
; %bb.35:
	s_endpgm
.LBB0_36:
	v_mul_f16_sdwa v4, v20, v0 dst_sel:DWORD dst_unused:UNUSED_PAD src0_sel:DWORD src1_sel:WORD_1
	v_mul_f16_sdwa v6, v19, v0 dst_sel:DWORD dst_unused:UNUSED_PAD src0_sel:DWORD src1_sel:WORD_1
	v_fma_f16 v4, v19, v0, v4
	v_fma_f16 v0, v20, v0, -v6
	v_lshrrev_b32_e32 v6, 16, v5
	v_mul_f16_sdwa v7, v6, v1 dst_sel:DWORD dst_unused:UNUSED_PAD src0_sel:DWORD src1_sel:WORD_1
	v_fma_f16 v7, v5, v1, v7
	v_mul_f16_sdwa v5, v5, v1 dst_sel:DWORD dst_unused:UNUSED_PAD src0_sel:DWORD src1_sel:WORD_1
	v_fma_f16 v1, v6, v1, -v5
	v_mul_f16_sdwa v5, v21, v2 dst_sel:DWORD dst_unused:UNUSED_PAD src0_sel:DWORD src1_sel:WORD_1
	v_fma_f16 v5, v3, v2, v5
	v_mul_f16_sdwa v3, v3, v2 dst_sel:DWORD dst_unused:UNUSED_PAD src0_sel:DWORD src1_sel:WORD_1
	v_fma_f16 v2, v21, v2, -v3
	v_sub_f16_e32 v1, v18, v1
	v_sub_f16_e32 v2, v0, v2
	;; [unrolled: 1-line block ×3, first 2 shown]
	v_fma_f16 v7, v18, 2.0, -v1
	v_sub_f16_e32 v5, v4, v5
	v_fma_f16 v0, v0, 2.0, -v2
	v_fma_f16 v6, v17, 2.0, -v3
	;; [unrolled: 1-line block ×3, first 2 shown]
	v_sub_f16_e32 v0, v7, v0
	s_waitcnt vmcnt(7)
	v_lshrrev_b32_e32 v15, 16, v26
	s_waitcnt vmcnt(6)
	v_mul_f16_sdwa v17, v26, v27 dst_sel:DWORD dst_unused:UNUSED_PAD src0_sel:DWORD src1_sel:WORD_1
	v_sub_f16_e32 v4, v6, v4
	v_fma_f16 v7, v7, 2.0, -v0
	v_mul_f16_sdwa v16, v15, v27 dst_sel:DWORD dst_unused:UNUSED_PAD src0_sel:DWORD src1_sel:WORD_1
	v_fma_f16 v15, v15, v27, v17
	v_fma_f16 v6, v6, 2.0, -v4
	v_fma_f16 v16, v26, v27, -v16
	v_mul_f16_e32 v17, v7, v15
	v_fma_f16 v17, v6, v16, v17
	v_mul_f16_e32 v6, v6, v15
	v_sub_f16_e32 v5, v1, v5
	v_fma_f16 v6, v7, v16, -v6
	s_waitcnt vmcnt(5)
	v_lshrrev_b32_e32 v7, 16, v24
	s_waitcnt vmcnt(4)
	v_mul_f16_sdwa v16, v24, v25 dst_sel:DWORD dst_unused:UNUSED_PAD src0_sel:DWORD src1_sel:WORD_1
	v_add_f16_e32 v2, v3, v2
	v_fma_f16 v1, v1, 2.0, -v5
	v_mul_f16_sdwa v15, v7, v25 dst_sel:DWORD dst_unused:UNUSED_PAD src0_sel:DWORD src1_sel:WORD_1
	v_fma_f16 v7, v7, v25, v16
	v_fma_f16 v3, v3, 2.0, -v2
	v_fma_f16 v15, v24, v25, -v15
	v_mul_f16_e32 v16, v1, v7
	v_fma_f16 v16, v3, v15, v16
	v_mul_f16_e32 v3, v3, v7
	v_fma_f16 v7, v1, v15, -v3
	s_waitcnt vmcnt(3)
	v_lshrrev_b32_e32 v1, 16, v12
	s_waitcnt vmcnt(2)
	v_mul_f16_sdwa v3, v1, v13 dst_sel:DWORD dst_unused:UNUSED_PAD src0_sel:DWORD src1_sel:WORD_1
	v_fma_f16 v3, v12, v13, -v3
	v_mul_f16_sdwa v12, v12, v13 dst_sel:DWORD dst_unused:UNUSED_PAD src0_sel:DWORD src1_sel:WORD_1
	v_fma_f16 v1, v1, v13, v12
	v_mul_f16_e32 v12, v0, v1
	v_mul_f16_e32 v1, v4, v1
	v_fma_f16 v12, v4, v3, v12
	v_fma_f16 v4, v0, v3, -v1
	s_waitcnt vmcnt(1)
	v_lshrrev_b32_e32 v0, 16, v10
	s_waitcnt vmcnt(0)
	v_mul_f16_sdwa v3, v10, v11 dst_sel:DWORD dst_unused:UNUSED_PAD src0_sel:DWORD src1_sel:WORD_1
	v_mul_f16_sdwa v1, v0, v11 dst_sel:DWORD dst_unused:UNUSED_PAD src0_sel:DWORD src1_sel:WORD_1
	v_fma_f16 v0, v0, v11, v3
	v_fma_f16 v1, v10, v11, -v1
	v_mul_f16_e32 v3, v5, v0
	v_mul_f16_e32 v0, v2, v0
	v_fma_f16 v10, v2, v1, v3
	v_fma_f16 v5, v5, v1, -v0
	v_mad_u64_u32 v[0:1], s[0:1], s4, v22, 0
	v_mov_b32_e32 v2, v1
	v_mad_u64_u32 v[2:3], s[0:1], s5, v22, v[2:3]
	v_mov_b32_e32 v1, v2
	v_lshl_add_u64 v[0:1], v[0:1], 2, v[8:9]
	v_pack_b32_f16 v2, v17, v6
	v_add_u32_e32 v3, 0x48, v14
	global_store_dword v[0:1], v2, off
	v_mad_u64_u32 v[0:1], s[0:1], s4, v3, 0
	v_mov_b32_e32 v2, v1
	v_mad_u64_u32 v[2:3], s[0:1], s5, v3, v[2:3]
	v_mov_b32_e32 v1, v2
	v_lshl_add_u64 v[0:1], v[0:1], 2, v[8:9]
	v_pack_b32_f16 v2, v16, v7
	v_or_b32_e32 v3, 0x70, v14
	global_store_dword v[0:1], v2, off
	v_mad_u64_u32 v[0:1], s[0:1], s4, v3, 0
	v_mov_b32_e32 v2, v1
	v_mad_u64_u32 v[2:3], s[0:1], s5, v3, v[2:3]
	v_mov_b32_e32 v1, v2
	v_lshl_add_u64 v[0:1], v[0:1], 2, v[8:9]
	v_pack_b32_f16 v2, v12, v4
	v_add_u32_e32 v3, 0x98, v14
	global_store_dword v[0:1], v2, off
	v_mad_u64_u32 v[0:1], s[0:1], s4, v3, 0
	v_mov_b32_e32 v2, v1
	v_mad_u64_u32 v[2:3], s[0:1], s5, v3, v[2:3]
	v_mov_b32_e32 v1, v2
	v_lshl_add_u64 v[0:1], v[0:1], 2, v[8:9]
	v_pack_b32_f16 v2, v10, v5
	global_store_dword v[0:1], v2, off
	s_endpgm
	.section	.rodata,"a",@progbits
	.p2align	6, 0x0
	.amdhsa_kernel fft_rtc_back_len160_factors_4_10_4_wgs_192_tpt_16_half_op_CI_CI_sbcc_twdbase8_2step_dirReg
		.amdhsa_group_segment_fixed_size 0
		.amdhsa_private_segment_fixed_size 0
		.amdhsa_kernarg_size 112
		.amdhsa_user_sgpr_count 2
		.amdhsa_user_sgpr_dispatch_ptr 0
		.amdhsa_user_sgpr_queue_ptr 0
		.amdhsa_user_sgpr_kernarg_segment_ptr 1
		.amdhsa_user_sgpr_dispatch_id 0
		.amdhsa_user_sgpr_kernarg_preload_length 0
		.amdhsa_user_sgpr_kernarg_preload_offset 0
		.amdhsa_user_sgpr_private_segment_size 0
		.amdhsa_uses_dynamic_stack 0
		.amdhsa_enable_private_segment 0
		.amdhsa_system_sgpr_workgroup_id_x 1
		.amdhsa_system_sgpr_workgroup_id_y 0
		.amdhsa_system_sgpr_workgroup_id_z 0
		.amdhsa_system_sgpr_workgroup_info 0
		.amdhsa_system_vgpr_workitem_id 0
		.amdhsa_next_free_vgpr 68
		.amdhsa_next_free_sgpr 57
		.amdhsa_accum_offset 68
		.amdhsa_reserve_vcc 1
		.amdhsa_float_round_mode_32 0
		.amdhsa_float_round_mode_16_64 0
		.amdhsa_float_denorm_mode_32 3
		.amdhsa_float_denorm_mode_16_64 3
		.amdhsa_dx10_clamp 1
		.amdhsa_ieee_mode 1
		.amdhsa_fp16_overflow 0
		.amdhsa_tg_split 0
		.amdhsa_exception_fp_ieee_invalid_op 0
		.amdhsa_exception_fp_denorm_src 0
		.amdhsa_exception_fp_ieee_div_zero 0
		.amdhsa_exception_fp_ieee_overflow 0
		.amdhsa_exception_fp_ieee_underflow 0
		.amdhsa_exception_fp_ieee_inexact 0
		.amdhsa_exception_int_div_zero 0
	.end_amdhsa_kernel
	.text
.Lfunc_end0:
	.size	fft_rtc_back_len160_factors_4_10_4_wgs_192_tpt_16_half_op_CI_CI_sbcc_twdbase8_2step_dirReg, .Lfunc_end0-fft_rtc_back_len160_factors_4_10_4_wgs_192_tpt_16_half_op_CI_CI_sbcc_twdbase8_2step_dirReg
                                        ; -- End function
	.section	.AMDGPU.csdata,"",@progbits
; Kernel info:
; codeLenInByte = 8576
; NumSgprs: 63
; NumVgprs: 68
; NumAgprs: 0
; TotalNumVgprs: 68
; ScratchSize: 0
; MemoryBound: 0
; FloatMode: 240
; IeeeMode: 1
; LDSByteSize: 0 bytes/workgroup (compile time only)
; SGPRBlocks: 7
; VGPRBlocks: 8
; NumSGPRsForWavesPerEU: 63
; NumVGPRsForWavesPerEU: 68
; AccumOffset: 68
; Occupancy: 7
; WaveLimiterHint : 1
; COMPUTE_PGM_RSRC2:SCRATCH_EN: 0
; COMPUTE_PGM_RSRC2:USER_SGPR: 2
; COMPUTE_PGM_RSRC2:TRAP_HANDLER: 0
; COMPUTE_PGM_RSRC2:TGID_X_EN: 1
; COMPUTE_PGM_RSRC2:TGID_Y_EN: 0
; COMPUTE_PGM_RSRC2:TGID_Z_EN: 0
; COMPUTE_PGM_RSRC2:TIDIG_COMP_CNT: 0
; COMPUTE_PGM_RSRC3_GFX90A:ACCUM_OFFSET: 16
; COMPUTE_PGM_RSRC3_GFX90A:TG_SPLIT: 0
	.text
	.p2alignl 6, 3212836864
	.fill 256, 4, 3212836864
	.type	__hip_cuid_7ed3414b51476f48,@object ; @__hip_cuid_7ed3414b51476f48
	.section	.bss,"aw",@nobits
	.globl	__hip_cuid_7ed3414b51476f48
__hip_cuid_7ed3414b51476f48:
	.byte	0                               ; 0x0
	.size	__hip_cuid_7ed3414b51476f48, 1

	.ident	"AMD clang version 19.0.0git (https://github.com/RadeonOpenCompute/llvm-project roc-6.4.0 25133 c7fe45cf4b819c5991fe208aaa96edf142730f1d)"
	.section	".note.GNU-stack","",@progbits
	.addrsig
	.addrsig_sym __hip_cuid_7ed3414b51476f48
	.amdgpu_metadata
---
amdhsa.kernels:
  - .agpr_count:     0
    .args:
      - .actual_access:  read_only
        .address_space:  global
        .offset:         0
        .size:           8
        .value_kind:     global_buffer
      - .address_space:  global
        .offset:         8
        .size:           8
        .value_kind:     global_buffer
      - .offset:         16
        .size:           8
        .value_kind:     by_value
      - .actual_access:  read_only
        .address_space:  global
        .offset:         24
        .size:           8
        .value_kind:     global_buffer
      - .actual_access:  read_only
        .address_space:  global
        .offset:         32
        .size:           8
        .value_kind:     global_buffer
      - .actual_access:  read_only
        .address_space:  global
        .offset:         40
        .size:           8
        .value_kind:     global_buffer
      - .offset:         48
        .size:           8
        .value_kind:     by_value
      - .actual_access:  read_only
        .address_space:  global
        .offset:         56
        .size:           8
        .value_kind:     global_buffer
      - .actual_access:  read_only
        .address_space:  global
        .offset:         64
        .size:           8
        .value_kind:     global_buffer
      - .offset:         72
        .size:           4
        .value_kind:     by_value
      - .actual_access:  read_only
        .address_space:  global
        .offset:         80
        .size:           8
        .value_kind:     global_buffer
      - .actual_access:  read_only
        .address_space:  global
        .offset:         88
        .size:           8
        .value_kind:     global_buffer
      - .actual_access:  read_only
        .address_space:  global
        .offset:         96
        .size:           8
        .value_kind:     global_buffer
      - .actual_access:  write_only
        .address_space:  global
        .offset:         104
        .size:           8
        .value_kind:     global_buffer
    .group_segment_fixed_size: 0
    .kernarg_segment_align: 8
    .kernarg_segment_size: 112
    .language:       OpenCL C
    .language_version:
      - 2
      - 0
    .max_flat_workgroup_size: 192
    .name:           fft_rtc_back_len160_factors_4_10_4_wgs_192_tpt_16_half_op_CI_CI_sbcc_twdbase8_2step_dirReg
    .private_segment_fixed_size: 0
    .sgpr_count:     63
    .sgpr_spill_count: 0
    .symbol:         fft_rtc_back_len160_factors_4_10_4_wgs_192_tpt_16_half_op_CI_CI_sbcc_twdbase8_2step_dirReg.kd
    .uniform_work_group_size: 1
    .uses_dynamic_stack: false
    .vgpr_count:     68
    .vgpr_spill_count: 0
    .wavefront_size: 64
amdhsa.target:   amdgcn-amd-amdhsa--gfx950
amdhsa.version:
  - 1
  - 2
...

	.end_amdgpu_metadata
